;; amdgpu-corpus repo=ROCm/rocFFT kind=compiled arch=gfx906 opt=O3
	.text
	.amdgcn_target "amdgcn-amd-amdhsa--gfx906"
	.amdhsa_code_object_version 6
	.protected	fft_rtc_back_len1980_factors_11_2_3_3_5_2_wgs_198_tpt_198_halfLds_half_ip_CI_unitstride_sbrr_R2C_dirReg ; -- Begin function fft_rtc_back_len1980_factors_11_2_3_3_5_2_wgs_198_tpt_198_halfLds_half_ip_CI_unitstride_sbrr_R2C_dirReg
	.globl	fft_rtc_back_len1980_factors_11_2_3_3_5_2_wgs_198_tpt_198_halfLds_half_ip_CI_unitstride_sbrr_R2C_dirReg
	.p2align	8
	.type	fft_rtc_back_len1980_factors_11_2_3_3_5_2_wgs_198_tpt_198_halfLds_half_ip_CI_unitstride_sbrr_R2C_dirReg,@function
fft_rtc_back_len1980_factors_11_2_3_3_5_2_wgs_198_tpt_198_halfLds_half_ip_CI_unitstride_sbrr_R2C_dirReg: ; @fft_rtc_back_len1980_factors_11_2_3_3_5_2_wgs_198_tpt_198_halfLds_half_ip_CI_unitstride_sbrr_R2C_dirReg
; %bb.0:
	s_load_dwordx2 s[2:3], s[4:5], 0x50
	s_load_dwordx4 s[8:11], s[4:5], 0x0
	s_load_dwordx2 s[12:13], s[4:5], 0x18
	v_mul_u32_u24_e32 v1, 0x14b, v0
	v_add_u32_sdwa v5, s6, v1 dst_sel:DWORD dst_unused:UNUSED_PAD src0_sel:DWORD src1_sel:WORD_1
	v_mov_b32_e32 v3, 0
	s_waitcnt lgkmcnt(0)
	v_cmp_lt_u64_e64 s[0:1], s[10:11], 2
	v_mov_b32_e32 v1, 0
	v_mov_b32_e32 v6, v3
	s_and_b64 vcc, exec, s[0:1]
	v_mov_b32_e32 v2, 0
	s_cbranch_vccnz .LBB0_8
; %bb.1:
	s_load_dwordx2 s[0:1], s[4:5], 0x10
	s_add_u32 s6, s12, 8
	s_addc_u32 s7, s13, 0
	v_mov_b32_e32 v1, 0
	v_mov_b32_e32 v2, 0
	s_waitcnt lgkmcnt(0)
	s_add_u32 s14, s0, 8
	s_addc_u32 s15, s1, 0
	s_mov_b64 s[16:17], 1
.LBB0_2:                                ; =>This Inner Loop Header: Depth=1
	s_load_dwordx2 s[18:19], s[14:15], 0x0
                                        ; implicit-def: $vgpr7_vgpr8
	s_waitcnt lgkmcnt(0)
	v_or_b32_e32 v4, s19, v6
	v_cmp_ne_u64_e32 vcc, 0, v[3:4]
	s_and_saveexec_b64 s[0:1], vcc
	s_xor_b64 s[20:21], exec, s[0:1]
	s_cbranch_execz .LBB0_4
; %bb.3:                                ;   in Loop: Header=BB0_2 Depth=1
	v_cvt_f32_u32_e32 v4, s18
	v_cvt_f32_u32_e32 v7, s19
	s_sub_u32 s0, 0, s18
	s_subb_u32 s1, 0, s19
	v_mac_f32_e32 v4, 0x4f800000, v7
	v_rcp_f32_e32 v4, v4
	v_mul_f32_e32 v4, 0x5f7ffffc, v4
	v_mul_f32_e32 v7, 0x2f800000, v4
	v_trunc_f32_e32 v7, v7
	v_mac_f32_e32 v4, 0xcf800000, v7
	v_cvt_u32_f32_e32 v7, v7
	v_cvt_u32_f32_e32 v4, v4
	v_mul_lo_u32 v8, s0, v7
	v_mul_hi_u32 v9, s0, v4
	v_mul_lo_u32 v11, s1, v4
	v_mul_lo_u32 v10, s0, v4
	v_add_u32_e32 v8, v9, v8
	v_add_u32_e32 v8, v8, v11
	v_mul_hi_u32 v9, v4, v10
	v_mul_lo_u32 v11, v4, v8
	v_mul_hi_u32 v13, v4, v8
	v_mul_hi_u32 v12, v7, v10
	v_mul_lo_u32 v10, v7, v10
	v_mul_hi_u32 v14, v7, v8
	v_add_co_u32_e32 v9, vcc, v9, v11
	v_addc_co_u32_e32 v11, vcc, 0, v13, vcc
	v_mul_lo_u32 v8, v7, v8
	v_add_co_u32_e32 v9, vcc, v9, v10
	v_addc_co_u32_e32 v9, vcc, v11, v12, vcc
	v_addc_co_u32_e32 v10, vcc, 0, v14, vcc
	v_add_co_u32_e32 v8, vcc, v9, v8
	v_addc_co_u32_e32 v9, vcc, 0, v10, vcc
	v_add_co_u32_e32 v4, vcc, v4, v8
	v_addc_co_u32_e32 v7, vcc, v7, v9, vcc
	v_mul_lo_u32 v8, s0, v7
	v_mul_hi_u32 v9, s0, v4
	v_mul_lo_u32 v10, s1, v4
	v_mul_lo_u32 v11, s0, v4
	v_add_u32_e32 v8, v9, v8
	v_add_u32_e32 v8, v8, v10
	v_mul_lo_u32 v12, v4, v8
	v_mul_hi_u32 v13, v4, v11
	v_mul_hi_u32 v14, v4, v8
	;; [unrolled: 1-line block ×3, first 2 shown]
	v_mul_lo_u32 v11, v7, v11
	v_mul_hi_u32 v9, v7, v8
	v_add_co_u32_e32 v12, vcc, v13, v12
	v_addc_co_u32_e32 v13, vcc, 0, v14, vcc
	v_mul_lo_u32 v8, v7, v8
	v_add_co_u32_e32 v11, vcc, v12, v11
	v_addc_co_u32_e32 v10, vcc, v13, v10, vcc
	v_addc_co_u32_e32 v9, vcc, 0, v9, vcc
	v_add_co_u32_e32 v8, vcc, v10, v8
	v_addc_co_u32_e32 v9, vcc, 0, v9, vcc
	v_add_co_u32_e32 v4, vcc, v4, v8
	v_addc_co_u32_e32 v9, vcc, v7, v9, vcc
	v_mad_u64_u32 v[7:8], s[0:1], v5, v9, 0
	v_mul_hi_u32 v10, v5, v4
	v_add_co_u32_e32 v11, vcc, v10, v7
	v_addc_co_u32_e32 v12, vcc, 0, v8, vcc
	v_mad_u64_u32 v[7:8], s[0:1], v6, v4, 0
	v_mad_u64_u32 v[9:10], s[0:1], v6, v9, 0
	v_add_co_u32_e32 v4, vcc, v11, v7
	v_addc_co_u32_e32 v4, vcc, v12, v8, vcc
	v_addc_co_u32_e32 v7, vcc, 0, v10, vcc
	v_add_co_u32_e32 v4, vcc, v4, v9
	v_addc_co_u32_e32 v9, vcc, 0, v7, vcc
	v_mul_lo_u32 v10, s19, v4
	v_mul_lo_u32 v11, s18, v9
	v_mad_u64_u32 v[7:8], s[0:1], s18, v4, 0
	v_add3_u32 v8, v8, v11, v10
	v_sub_u32_e32 v10, v6, v8
	v_mov_b32_e32 v11, s19
	v_sub_co_u32_e32 v7, vcc, v5, v7
	v_subb_co_u32_e64 v10, s[0:1], v10, v11, vcc
	v_subrev_co_u32_e64 v11, s[0:1], s18, v7
	v_subbrev_co_u32_e64 v10, s[0:1], 0, v10, s[0:1]
	v_cmp_le_u32_e64 s[0:1], s19, v10
	v_cndmask_b32_e64 v12, 0, -1, s[0:1]
	v_cmp_le_u32_e64 s[0:1], s18, v11
	v_cndmask_b32_e64 v11, 0, -1, s[0:1]
	v_cmp_eq_u32_e64 s[0:1], s19, v10
	v_cndmask_b32_e64 v10, v12, v11, s[0:1]
	v_add_co_u32_e64 v11, s[0:1], 2, v4
	v_addc_co_u32_e64 v12, s[0:1], 0, v9, s[0:1]
	v_add_co_u32_e64 v13, s[0:1], 1, v4
	v_addc_co_u32_e64 v14, s[0:1], 0, v9, s[0:1]
	v_subb_co_u32_e32 v8, vcc, v6, v8, vcc
	v_cmp_ne_u32_e64 s[0:1], 0, v10
	v_cmp_le_u32_e32 vcc, s19, v8
	v_cndmask_b32_e64 v10, v14, v12, s[0:1]
	v_cndmask_b32_e64 v12, 0, -1, vcc
	v_cmp_le_u32_e32 vcc, s18, v7
	v_cndmask_b32_e64 v7, 0, -1, vcc
	v_cmp_eq_u32_e32 vcc, s19, v8
	v_cndmask_b32_e32 v7, v12, v7, vcc
	v_cmp_ne_u32_e32 vcc, 0, v7
	v_cndmask_b32_e64 v7, v13, v11, s[0:1]
	v_cndmask_b32_e32 v8, v9, v10, vcc
	v_cndmask_b32_e32 v7, v4, v7, vcc
.LBB0_4:                                ;   in Loop: Header=BB0_2 Depth=1
	s_andn2_saveexec_b64 s[0:1], s[20:21]
	s_cbranch_execz .LBB0_6
; %bb.5:                                ;   in Loop: Header=BB0_2 Depth=1
	v_cvt_f32_u32_e32 v4, s18
	s_sub_i32 s20, 0, s18
	v_rcp_iflag_f32_e32 v4, v4
	v_mul_f32_e32 v4, 0x4f7ffffe, v4
	v_cvt_u32_f32_e32 v4, v4
	v_mul_lo_u32 v7, s20, v4
	v_mul_hi_u32 v7, v4, v7
	v_add_u32_e32 v4, v4, v7
	v_mul_hi_u32 v4, v5, v4
	v_mul_lo_u32 v7, v4, s18
	v_add_u32_e32 v8, 1, v4
	v_sub_u32_e32 v7, v5, v7
	v_subrev_u32_e32 v9, s18, v7
	v_cmp_le_u32_e32 vcc, s18, v7
	v_cndmask_b32_e32 v7, v7, v9, vcc
	v_cndmask_b32_e32 v4, v4, v8, vcc
	v_add_u32_e32 v8, 1, v4
	v_cmp_le_u32_e32 vcc, s18, v7
	v_cndmask_b32_e32 v7, v4, v8, vcc
	v_mov_b32_e32 v8, v3
.LBB0_6:                                ;   in Loop: Header=BB0_2 Depth=1
	s_or_b64 exec, exec, s[0:1]
	v_mul_lo_u32 v4, v8, s18
	v_mul_lo_u32 v11, v7, s19
	v_mad_u64_u32 v[9:10], s[0:1], v7, s18, 0
	s_load_dwordx2 s[0:1], s[6:7], 0x0
	s_add_u32 s16, s16, 1
	v_add3_u32 v4, v10, v11, v4
	v_sub_co_u32_e32 v5, vcc, v5, v9
	v_subb_co_u32_e32 v4, vcc, v6, v4, vcc
	s_waitcnt lgkmcnt(0)
	v_mul_lo_u32 v4, s0, v4
	v_mul_lo_u32 v6, s1, v5
	v_mad_u64_u32 v[1:2], s[0:1], s0, v5, v[1:2]
	s_addc_u32 s17, s17, 0
	s_add_u32 s6, s6, 8
	v_add3_u32 v2, v6, v2, v4
	v_mov_b32_e32 v4, s10
	v_mov_b32_e32 v5, s11
	s_addc_u32 s7, s7, 0
	v_cmp_ge_u64_e32 vcc, s[16:17], v[4:5]
	s_add_u32 s14, s14, 8
	s_addc_u32 s15, s15, 0
	s_cbranch_vccnz .LBB0_9
; %bb.7:                                ;   in Loop: Header=BB0_2 Depth=1
	v_mov_b32_e32 v5, v7
	v_mov_b32_e32 v6, v8
	s_branch .LBB0_2
.LBB0_8:
	v_mov_b32_e32 v8, v6
	v_mov_b32_e32 v7, v5
.LBB0_9:
	s_lshl_b64 s[0:1], s[10:11], 3
	s_add_u32 s0, s12, s0
	s_addc_u32 s1, s13, s1
	s_load_dwordx2 s[6:7], s[0:1], 0x0
	s_load_dwordx2 s[10:11], s[4:5], 0x20
	s_waitcnt lgkmcnt(0)
	v_mad_u64_u32 v[1:2], s[0:1], s6, v7, v[1:2]
	s_mov_b32 s0, 0x14afd6b
	v_mul_lo_u32 v3, s6, v8
	v_mul_lo_u32 v4, s7, v7
	v_mul_hi_u32 v5, v0, s0
	v_cmp_gt_u64_e64 s[0:1], s[10:11], v[7:8]
	v_add3_u32 v2, v4, v2, v3
	v_mul_u32_u24_e32 v3, 0xc6, v5
	v_sub_u32_e32 v0, v0, v3
	v_lshlrev_b64 v[2:3], 2, v[1:2]
	v_lshl_add_u32 v14, v0, 2, 0
	s_and_saveexec_b64 s[4:5], s[0:1]
	s_cbranch_execz .LBB0_11
; %bb.10:
	v_mov_b32_e32 v1, 0
	v_mov_b32_e32 v4, s3
	v_add_co_u32_e32 v6, vcc, s2, v2
	v_addc_co_u32_e32 v7, vcc, v4, v3, vcc
	v_lshlrev_b64 v[4:5], 2, v[0:1]
	v_add_co_u32_e32 v4, vcc, v6, v4
	v_addc_co_u32_e32 v5, vcc, v7, v5, vcc
	v_add_co_u32_e32 v6, vcc, 0x1000, v4
	v_addc_co_u32_e32 v7, vcc, 0, v5, vcc
	global_load_dword v1, v[4:5], off
	global_load_dword v8, v[4:5], off offset:792
	global_load_dword v9, v[4:5], off offset:1584
	;; [unrolled: 1-line block ×9, first 2 shown]
	v_add_u32_e32 v4, 0x600, v14
	v_add_u32_e32 v5, 0xc00, v14
	;; [unrolled: 1-line block ×4, first 2 shown]
	s_waitcnt vmcnt(8)
	ds_write2_b32 v14, v1, v8 offset1:198
	s_waitcnt vmcnt(6)
	ds_write2_b32 v4, v9, v10 offset0:12 offset1:210
	s_waitcnt vmcnt(4)
	ds_write2_b32 v5, v11, v12 offset0:24 offset1:222
	s_waitcnt vmcnt(2)
	ds_write2_b32 v6, v13, v15 offset0:36 offset1:234
	s_waitcnt vmcnt(0)
	ds_write2_b32 v7, v16, v17 offset0:48 offset1:246
.LBB0_11:
	s_or_b64 exec, exec, s[4:5]
	v_add_u32_e32 v1, 0x500, v14
	s_waitcnt lgkmcnt(0)
	s_barrier
	ds_read2_b32 v[4:5], v14 offset1:180
	ds_read_b32 v22, v14 offset:7200
	ds_read2_b32 v[8:9], v1 offset0:40 offset1:220
	v_add_u32_e32 v1, 0x1600, v14
	ds_read2_b32 v[6:7], v1 offset0:32 offset1:212
	v_add_u32_e32 v10, 0xb00, v14
	;; [unrolled: 2-line block ×3, first 2 shown]
	ds_read2_b32 v[10:11], v10 offset0:56 offset1:236
	s_waitcnt lgkmcnt(4)
	v_pk_add_f16 v16, v5, v22 neg_lo:[0,1] neg_hi:[0,1]
	s_mov_b32 s16, 0xb853
	v_pk_add_f16 v19, v22, v5
	v_pk_mul_f16 v1, v16, s16 op_sel_hi:[1,0]
	s_movk_i32 s7, 0x3abb
	s_waitcnt lgkmcnt(2)
	v_pk_add_f16 v17, v8, v7 neg_lo:[0,1] neg_hi:[0,1]
	s_mov_b32 s17, 0xbb47
	v_pk_fma_f16 v24, v19, s7, v1 op_sel:[0,0,1] op_sel_hi:[1,0,0] neg_lo:[0,0,1] neg_hi:[0,0,1]
	v_pk_fma_f16 v25, v19, s7, v1 op_sel:[0,0,1] op_sel_hi:[1,0,0]
	v_pk_add_f16 v20, v7, v8
	v_pk_mul_f16 v1, v17, s17 op_sel_hi:[1,0]
	s_movk_i32 s10, 0x36a6
	v_pk_add_f16 v18, v9, v6 neg_lo:[0,1] neg_hi:[0,1]
	s_mov_b32 s6, 0xbbeb
	v_pk_fma_f16 v28, v20, s10, v1 op_sel:[0,0,1] op_sel_hi:[1,0,0] neg_lo:[0,0,1] neg_hi:[0,0,1]
	v_pk_fma_f16 v29, v20, s10, v1 op_sel:[0,0,1] op_sel_hi:[1,0,0]
	v_pk_add_f16 v21, v6, v9
	s_mov_b32 s11, 0xb08e
	v_pk_mul_f16 v1, v18, s6 op_sel_hi:[1,0]
	s_mov_b32 s12, 0xba0c
	s_waitcnt lgkmcnt(0)
	v_pk_add_f16 v23, v12, v11 neg_lo:[0,1] neg_hi:[0,1]
	s_mov_b32 s13, 0xb482
	v_pk_add_f16 v27, v13, v10 neg_lo:[0,1] neg_hi:[0,1]
	v_pk_fma_f16 v31, v21, s11, v1 op_sel:[0,0,1] op_sel_hi:[1,0,0] neg_lo:[0,0,1] neg_hi:[0,0,1]
	v_pk_fma_f16 v32, v21, s11, v1 op_sel:[0,0,1] op_sel_hi:[1,0,0]
	s_mov_b32 s14, 0xb93d
	v_pk_add_f16 v26, v11, v12
	v_pk_mul_f16 v1, v23, s12 op_sel_hi:[1,0]
	s_mov_b32 s15, 0xbbad
	v_pk_add_f16 v30, v10, v13
	v_pk_mul_f16 v15, v27, s13 op_sel_hi:[1,0]
	v_pk_fma_f16 v33, v26, s14, v1 op_sel:[0,0,1] op_sel_hi:[1,0,0] neg_lo:[0,0,1] neg_hi:[0,0,1]
	v_pk_fma_f16 v34, v26, s14, v1 op_sel:[0,0,1] op_sel_hi:[1,0,0]
	v_add_f16_e32 v1, v4, v24
	v_pk_fma_f16 v35, v30, s15, v15 op_sel:[0,0,1] op_sel_hi:[1,0,0] neg_lo:[0,0,1] neg_hi:[0,0,1]
	v_pk_fma_f16 v36, v30, s15, v15 op_sel:[0,0,1] op_sel_hi:[1,0,0]
	v_add_f16_sdwa v15, v4, v25 dst_sel:DWORD dst_unused:UNUSED_PAD src0_sel:WORD_1 src1_sel:WORD_1
	v_add_f16_e32 v1, v28, v1
	v_add_f16_sdwa v15, v29, v15 dst_sel:DWORD dst_unused:UNUSED_PAD src0_sel:WORD_1 src1_sel:DWORD
	v_add_f16_e32 v1, v31, v1
	v_add_f16_sdwa v15, v32, v15 dst_sel:DWORD dst_unused:UNUSED_PAD src0_sel:WORD_1 src1_sel:DWORD
	;; [unrolled: 2-line block ×3, first 2 shown]
	s_movk_i32 s4, 0xb4
	v_add_f16_e32 v1, v35, v1
	v_add_f16_sdwa v15, v36, v15 dst_sel:DWORD dst_unused:UNUSED_PAD src0_sel:WORD_1 src1_sel:DWORD
	v_cmp_gt_u32_e32 vcc, s4, v0
	s_barrier
	s_and_saveexec_b64 s[4:5], vcc
	s_cbranch_execz .LBB0_13
; %bb.12:
	v_pk_add_f16 v5, v4, v5
	v_pk_add_f16 v5, v5, v8
	;; [unrolled: 1-line block ×6, first 2 shown]
	v_mul_f16_e32 v8, 0xbb47, v16
	v_lshrrev_b32_e32 v9, 16, v19
	v_pk_add_f16 v5, v5, v11
	v_fma_f16 v12, v9, s10, v8
	v_mul_f16_e32 v10, 0xba0c, v17
	v_lshrrev_b32_e32 v11, 16, v20
	v_pk_add_f16 v5, v5, v6
	v_add_f16_sdwa v12, v4, v12 dst_sel:DWORD dst_unused:UNUSED_PAD src0_sel:WORD_1 src1_sel:DWORD
	v_fma_f16 v13, v11, s14, v10
	v_pk_add_f16 v5, v5, v7
	v_mul_f16_e32 v6, 0x3482, v18
	v_lshrrev_b32_e32 v7, 16, v21
	v_add_f16_e32 v12, v13, v12
	v_fma_f16 v13, v7, s15, v6
	v_add_f16_e32 v12, v13, v12
	v_mul_f16_e32 v13, 0x3beb, v23
	v_lshrrev_b32_e32 v37, 16, v26
	v_fma_f16 v38, v37, s11, v13
	v_add_f16_e32 v12, v38, v12
	v_mul_f16_e32 v38, 0x3853, v27
	v_lshrrev_b32_e32 v39, 16, v30
	v_fma_f16 v40, v39, s7, v38
	v_add_f16_e32 v12, v40, v12
	v_mul_f16_sdwa v40, v16, s17 dst_sel:DWORD dst_unused:UNUSED_PAD src0_sel:WORD_1 src1_sel:DWORD
	v_fma_f16 v41, v19, s10, -v40
	v_mul_f16_sdwa v42, v17, s12 dst_sel:DWORD dst_unused:UNUSED_PAD src0_sel:WORD_1 src1_sel:DWORD
	v_add_f16_e32 v41, v4, v41
	v_fma_f16 v43, v20, s14, -v42
	s_movk_i32 s17, 0x3482
	v_add_f16_e32 v41, v43, v41
	v_mul_f16_sdwa v43, v18, s17 dst_sel:DWORD dst_unused:UNUSED_PAD src0_sel:WORD_1 src1_sel:DWORD
	v_fma_f16 v44, v21, s15, -v43
	s_movk_i32 s18, 0x3beb
	v_add_f16_e32 v41, v44, v41
	v_mul_f16_sdwa v44, v23, s18 dst_sel:DWORD dst_unused:UNUSED_PAD src0_sel:WORD_1 src1_sel:DWORD
	;; [unrolled: 4-line block ×3, first 2 shown]
	v_fma_f16 v46, v30, s7, -v45
	v_add_f16_e32 v41, v46, v41
	v_mul_f16_e32 v46, 0xbbeb, v16
	v_fma_f16 v47, v9, s11, v46
	v_mul_f16_e32 v48, 0x3482, v17
	v_add_f16_sdwa v47, v4, v47 dst_sel:DWORD dst_unused:UNUSED_PAD src0_sel:WORD_1 src1_sel:DWORD
	v_fma_f16 v49, v11, s15, v48
	v_add_f16_e32 v47, v49, v47
	v_mul_f16_e32 v49, 0x3b47, v18
	v_fma_f16 v50, v7, s10, v49
	v_add_f16_e32 v47, v50, v47
	v_mul_f16_e32 v50, 0xb853, v23
	;; [unrolled: 3-line block ×3, first 2 shown]
	v_fma_f16 v52, v39, s14, v51
	v_add_f16_e32 v47, v52, v47
	v_mul_f16_sdwa v52, v16, s6 dst_sel:DWORD dst_unused:UNUSED_PAD src0_sel:WORD_1 src1_sel:DWORD
	v_fma_f16 v53, v19, s11, -v52
	v_mul_f16_sdwa v54, v17, s17 dst_sel:DWORD dst_unused:UNUSED_PAD src0_sel:WORD_1 src1_sel:DWORD
	v_add_f16_e32 v53, v4, v53
	v_fma_f16 v55, v20, s15, -v54
	s_movk_i32 s17, 0x3b47
	v_add_f16_e32 v53, v55, v53
	v_mul_f16_sdwa v55, v18, s17 dst_sel:DWORD dst_unused:UNUSED_PAD src0_sel:WORD_1 src1_sel:DWORD
	v_fma_f16 v56, v21, s10, -v55
	v_add_f16_e32 v53, v56, v53
	v_mul_f16_sdwa v56, v23, s16 dst_sel:DWORD dst_unused:UNUSED_PAD src0_sel:WORD_1 src1_sel:DWORD
	v_fma_f16 v57, v26, s7, -v56
	;; [unrolled: 3-line block ×3, first 2 shown]
	v_add_f16_e32 v53, v58, v53
	v_mul_f16_e32 v58, 0xba0c, v16
	v_fma_f16 v59, v9, s14, v58
	v_mul_f16_e32 v60, 0x3beb, v17
	v_add_f16_sdwa v59, v4, v59 dst_sel:DWORD dst_unused:UNUSED_PAD src0_sel:WORD_1 src1_sel:DWORD
	v_fma_f16 v61, v11, s11, v60
	v_add_f16_e32 v59, v61, v59
	v_mul_f16_e32 v61, 0xb853, v18
	v_fma_f16 v8, v9, s10, -v8
	v_fma_f16 v62, v7, s7, v61
	v_fma_f16 v58, v9, s14, -v58
	v_fma_f16 v46, v9, s11, -v46
	;; [unrolled: 1-line block ×3, first 2 shown]
	v_add_f16_sdwa v8, v4, v8 dst_sel:DWORD dst_unused:UNUSED_PAD src0_sel:WORD_1 src1_sel:DWORD
	v_add_f16_e32 v59, v62, v59
	v_mul_f16_e32 v62, 0xb482, v23
	v_add_f16_sdwa v58, v4, v58 dst_sel:DWORD dst_unused:UNUSED_PAD src0_sel:WORD_1 src1_sel:DWORD
	v_fma_f16 v60, v11, s11, -v60
	v_add_f16_sdwa v46, v4, v46 dst_sel:DWORD dst_unused:UNUSED_PAD src0_sel:WORD_1 src1_sel:DWORD
	v_fma_f16 v48, v11, s15, -v48
	v_add_f16_e32 v8, v9, v8
	v_fma_f16 v6, v7, s15, -v6
	v_fma_f16 v63, v37, s15, v62
	v_add_f16_e32 v58, v60, v58
	v_fma_f16 v60, v7, s7, -v61
	v_add_f16_e32 v46, v48, v46
	v_fma_f16 v48, v7, s10, -v49
	;; [unrolled: 2-line block ×3, first 2 shown]
	v_add_f16_e32 v59, v63, v59
	v_mul_f16_e32 v63, 0x3b47, v27
	v_add_f16_e32 v6, v7, v6
	v_fma_f16 v7, v39, s7, -v38
	v_fma_f16 v64, v39, s10, v63
	v_add_f16_e32 v6, v7, v6
	v_fma_f16 v7, v19, s10, v40
	v_add_f16_e32 v59, v64, v59
	v_mul_f16_sdwa v64, v16, s12 dst_sel:DWORD dst_unused:UNUSED_PAD src0_sel:WORD_1 src1_sel:DWORD
	v_add_f16_e32 v7, v4, v7
	v_fma_f16 v8, v20, s14, v42
	v_fma_f16 v65, v19, s14, -v64
	v_mul_f16_sdwa v66, v17, s18 dst_sel:DWORD dst_unused:UNUSED_PAD src0_sel:WORD_1 src1_sel:DWORD
	v_add_f16_e32 v7, v8, v7
	v_fma_f16 v8, v21, s15, v43
	v_add_f16_e32 v65, v4, v65
	v_fma_f16 v67, v20, s11, -v66
	v_add_f16_e32 v46, v48, v46
	v_fma_f16 v48, v37, s7, -v50
	v_add_f16_e32 v7, v8, v7
	v_fma_f16 v8, v26, s11, v44
	v_add_f16_e32 v65, v67, v65
	v_mul_f16_sdwa v67, v18, s16 dst_sel:DWORD dst_unused:UNUSED_PAD src0_sel:WORD_1 src1_sel:DWORD
	v_add_f16_e32 v58, v60, v58
	v_fma_f16 v60, v37, s15, -v62
	v_add_f16_e32 v46, v48, v46
	v_fma_f16 v48, v39, s14, -v51
	v_add_f16_e32 v7, v8, v7
	v_fma_f16 v8, v30, s7, v45
	s_mov_b32 s16, 0xffff
	v_add_f16_e32 v58, v60, v58
	v_fma_f16 v60, v39, s10, -v63
	v_add_f16_e32 v46, v48, v46
	v_fma_f16 v48, v19, s11, v52
	v_add_f16_e32 v7, v8, v7
	v_bfi_b32 v8, s16, v25, v24
	v_fma_f16 v68, v21, s7, -v67
	v_add_f16_e32 v58, v60, v58
	v_fma_f16 v60, v19, s14, v64
	v_add_f16_e32 v48, v4, v48
	v_fma_f16 v49, v20, s15, v54
	v_bfi_b32 v9, s16, v29, v28
	v_pk_add_f16 v8, v4, v8
	v_add_f16_e32 v65, v68, v65
	v_mul_f16_sdwa v68, v23, s13 dst_sel:DWORD dst_unused:UNUSED_PAD src0_sel:WORD_1 src1_sel:DWORD
	v_add_f16_e32 v60, v4, v60
	v_fma_f16 v61, v20, s11, v66
	v_add_f16_e32 v48, v49, v48
	v_fma_f16 v49, v21, s10, v55
	v_bfi_b32 v10, s16, v32, v31
	v_pk_add_f16 v8, v9, v8
	v_fma_f16 v69, v26, s15, -v68
	v_add_f16_e32 v60, v61, v60
	v_fma_f16 v61, v21, s7, v67
	v_add_f16_e32 v48, v49, v48
	v_fma_f16 v49, v26, s7, v56
	v_bfi_b32 v11, s16, v34, v33
	v_pk_add_f16 v8, v10, v8
	v_add_f16_e32 v65, v69, v65
	v_mul_f16_sdwa v69, v27, s17 dst_sel:DWORD dst_unused:UNUSED_PAD src0_sel:WORD_1 src1_sel:DWORD
	v_add_f16_e32 v60, v61, v60
	v_fma_f16 v61, v26, s15, v68
	v_add_f16_e32 v48, v49, v48
	v_fma_f16 v49, v30, s14, v57
	v_bfi_b32 v13, s16, v36, v35
	v_pk_add_f16 v8, v11, v8
	v_add_f16_e32 v60, v61, v60
	v_fma_f16 v61, v30, s10, v69
	v_add_f16_e32 v48, v49, v48
	v_pk_add_f16 v5, v5, v22
	v_mad_u32_u24 v22, v0, 40, v14
	v_pk_add_f16 v8, v13, v8
	v_add_f16_e32 v60, v61, v60
	ds_write2_b32 v22, v5, v8 offset1:1
	v_pack_b32_f16 v5, v48, v46
	v_pack_b32_f16 v6, v7, v6
	ds_write2_b32 v22, v6, v5 offset0:2 offset1:3
	v_pack_b32_f16 v5, v60, v58
	ds_write_b32 v22, v5 offset:16
	v_pk_mul_f16 v5, v19, s15 op_sel_hi:[1,0]
	v_pk_fma_f16 v6, v16, s13, v5 op_sel:[0,0,1] op_sel_hi:[1,0,0]
	v_alignbit_b32 v7, s0, v4, 16
	v_pk_mul_f16 v8, v20, s7 op_sel_hi:[1,0]
	v_pk_add_f16 v7, v7, v6
	v_pk_fma_f16 v9, v17, s19, v8 op_sel:[0,0,1] op_sel_hi:[1,0,0]
	v_pk_mul_f16 v10, v21, s14 op_sel_hi:[1,0]
	v_pk_fma_f16 v5, v16, s13, v5 op_sel:[0,0,1] op_sel_hi:[1,0,0] neg_lo:[1,0,0] neg_hi:[1,0,0]
	v_alignbit_b32 v6, s0, v6, 16
	v_pk_fma_f16 v11, v18, s12, v10 op_sel:[0,0,1] op_sel_hi:[1,0,0]
	v_pk_mul_f16 v13, v26, s10 op_sel_hi:[1,0]
	v_pk_add_f16 v5, v4, v5 op_sel:[1,0] op_sel_hi:[0,1]
	v_pk_fma_f16 v8, v17, s19, v8 op_sel:[0,0,1] op_sel_hi:[1,0,0] neg_lo:[1,0,0] neg_hi:[1,0,0]
	v_pk_add_f16 v4, v4, v6
	v_alignbit_b32 v6, s0, v9, 16
	v_pk_add_f16 v7, v9, v7
	v_pk_fma_f16 v19, v23, s17, v13 op_sel:[0,0,1] op_sel_hi:[1,0,0]
	v_pk_mul_f16 v20, v30, s11 op_sel_hi:[1,0]
	v_pk_add_f16 v5, v8, v5
	v_pk_fma_f16 v8, v18, s12, v10 op_sel:[0,0,1] op_sel_hi:[1,0,0] neg_lo:[1,0,0] neg_hi:[1,0,0]
	v_pk_add_f16 v4, v6, v4
	v_alignbit_b32 v6, s0, v11, 16
	v_pk_add_f16 v7, v11, v7
	v_pk_fma_f16 v21, v27, s6, v20 op_sel:[0,0,1] op_sel_hi:[1,0,0]
	v_pk_add_f16 v5, v8, v5
	v_pk_fma_f16 v8, v23, s17, v13 op_sel:[0,0,1] op_sel_hi:[1,0,0] neg_lo:[1,0,0] neg_hi:[1,0,0]
	v_pk_add_f16 v4, v6, v4
	v_alignbit_b32 v6, s0, v19, 16
	v_pk_add_f16 v7, v19, v7
	v_pk_add_f16 v5, v8, v5
	v_pk_fma_f16 v8, v27, s6, v20 op_sel:[0,0,1] op_sel_hi:[1,0,0] neg_lo:[1,0,0] neg_hi:[1,0,0]
	v_pk_add_f16 v4, v6, v4
	v_alignbit_b32 v6, s0, v21, 16
	v_fma_f16 v70, v30, s10, -v69
	v_pk_add_f16 v7, v21, v7
	v_pk_add_f16 v5, v8, v5
	;; [unrolled: 1-line block ×3, first 2 shown]
	v_add_f16_e32 v65, v70, v65
	v_alignbit_b32 v6, v7, v5, 16
	v_pack_b32_f16 v4, v4, v5
	ds_write2_b32 v22, v4, v6 offset0:5 offset1:6
	v_pack_b32_f16 v4, v53, v47
	v_pack_b32_f16 v5, v65, v59
	s_mov_b32 s6, 0x5040100
	ds_write2_b32 v22, v5, v4 offset0:7 offset1:8
	v_pack_b32_f16 v4, v41, v12
	v_perm_b32 v5, v15, v1, s6
	ds_write2_b32 v22, v4, v5 offset0:9 offset1:10
.LBB0_13:
	s_or_b64 exec, exec, s[4:5]
	v_add_u32_e32 v4, 0x318, v0
	s_mov_b32 s4, 0xba2f
	v_add_u32_e32 v12, 0xc6, v0
	v_mul_u32_u24_sdwa v8, v4, s4 dst_sel:DWORD dst_unused:UNUSED_PAD src0_sel:WORD_0 src1_sel:DWORD
	v_mul_u32_u24_sdwa v19, v12, s4 dst_sel:DWORD dst_unused:UNUSED_PAD src0_sel:WORD_0 src1_sel:DWORD
	v_lshrrev_b32_e32 v26, 19, v8
	v_add_u32_e32 v11, 0x18c, v0
	v_add_u32_e32 v10, 0x252, v0
	v_lshrrev_b32_e32 v13, 19, v19
	v_mul_lo_u16_e32 v8, 11, v26
	v_mul_lo_u16_e32 v5, 11, v13
	v_mul_u32_u24_sdwa v18, v11, s4 dst_sel:DWORD dst_unused:UNUSED_PAD src0_sel:WORD_0 src1_sel:DWORD
	v_mul_u32_u24_sdwa v16, v10, s4 dst_sel:DWORD dst_unused:UNUSED_PAD src0_sel:WORD_0 src1_sel:DWORD
	v_sub_u16_e32 v4, v4, v8
	s_movk_i32 s4, 0x75
	v_sub_u16_e32 v5, v12, v5
	v_lshlrev_b32_e32 v30, 2, v4
	v_mul_lo_u16_sdwa v4, v0, s4 dst_sel:DWORD dst_unused:UNUSED_PAD src0_sel:BYTE_0 src1_sel:DWORD
	v_lshlrev_b32_e32 v27, 2, v5
	v_sub_u16_sdwa v5, v0, v4 dst_sel:DWORD dst_unused:UNUSED_PAD src0_sel:DWORD src1_sel:BYTE_1
	v_lshrrev_b16_e32 v5, 1, v5
	v_and_b32_e32 v5, 0x7f, v5
	v_add_u16_sdwa v4, v5, v4 dst_sel:DWORD dst_unused:UNUSED_PAD src0_sel:DWORD src1_sel:BYTE_1
	v_lshrrev_b16_e32 v35, 3, v4
	v_lshrrev_b32_e32 v24, 19, v18
	v_lshrrev_b32_e32 v25, 19, v16
	v_mul_lo_u16_e32 v4, 11, v35
	v_mul_lo_u16_e32 v6, 11, v24
	;; [unrolled: 1-line block ×3, first 2 shown]
	v_sub_u16_e32 v4, v0, v4
	v_mov_b32_e32 v17, 2
	v_sub_u16_e32 v6, v11, v6
	v_sub_u16_e32 v7, v10, v7
	v_lshlrev_b32_sdwa v36, v17, v4 dst_sel:DWORD dst_unused:UNUSED_PAD src0_sel:DWORD src1_sel:BYTE_0
	s_waitcnt lgkmcnt(0)
	s_barrier
	v_lshlrev_b32_e32 v28, 2, v6
	v_lshlrev_b32_e32 v29, 2, v7
	global_load_dword v31, v30, s[8:9]
	global_load_dword v32, v29, s[8:9]
	;; [unrolled: 1-line block ×5, first 2 shown]
	v_add_u32_e32 v6, 0xc00, v14
	v_add_u32_e32 v8, 0x1200, v14
	;; [unrolled: 1-line block ×4, first 2 shown]
	ds_read2_b32 v[4:5], v14 offset1:198
	ds_read2_b32 v[6:7], v6 offset0:24 offset1:222
	ds_read2_b32 v[8:9], v8 offset0:36 offset1:234
	;; [unrolled: 1-line block ×4, first 2 shown]
	v_mul_u32_u24_e32 v13, 0x58, v13
	v_mul_u32_u24_e32 v24, 0x58, v24
	;; [unrolled: 1-line block ×3, first 2 shown]
	v_add3_u32 v27, 0, v13, v27
	v_mul_u32_u24_e32 v13, 0x58, v35
	v_mul_u32_u24_e32 v26, 0x58, v26
	v_add3_u32 v24, 0, v24, v28
	v_add3_u32 v25, 0, v25, v29
	;; [unrolled: 1-line block ×3, first 2 shown]
	s_mov_b32 s4, 0xffff
	v_add3_u32 v26, 0, v26, v30
	s_waitcnt vmcnt(0) lgkmcnt(0)
	s_barrier
	v_pk_mul_f16 v13, v31, v23 op_sel:[0,1]
	v_pk_mul_f16 v29, v32, v22 op_sel:[0,1]
	;; [unrolled: 1-line block ×3, first 2 shown]
	v_pk_fma_f16 v36, v31, v23, v13 op_sel:[0,0,1] op_sel_hi:[1,1,0]
	v_pk_fma_f16 v13, v31, v23, v13 op_sel:[0,0,1] op_sel_hi:[1,0,0] neg_lo:[1,0,0] neg_hi:[1,0,0]
	v_pk_fma_f16 v23, v32, v22, v29 op_sel:[0,0,1] op_sel_hi:[1,1,0]
	v_pk_fma_f16 v22, v32, v22, v29 op_sel:[0,0,1] op_sel_hi:[1,0,0] neg_lo:[1,0,0] neg_hi:[1,0,0]
	;; [unrolled: 2-line block ×3, first 2 shown]
	v_bfi_b32 v22, s4, v23, v22
	v_pk_mul_f16 v23, v37, v7 op_sel:[0,1]
	v_pk_mul_f16 v35, v34, v8 op_sel:[0,1]
	v_bfi_b32 v9, s4, v29, v9
	v_pk_fma_f16 v29, v37, v7, v23 op_sel:[0,0,1] op_sel_hi:[1,1,0]
	v_pk_fma_f16 v7, v37, v7, v23 op_sel:[0,0,1] op_sel_hi:[1,0,0] neg_lo:[1,0,0] neg_hi:[1,0,0]
	v_pk_fma_f16 v30, v34, v8, v35 op_sel:[0,0,1] op_sel_hi:[1,1,0]
	v_pk_fma_f16 v8, v34, v8, v35 op_sel:[0,0,1] op_sel_hi:[1,0,0] neg_lo:[1,0,0] neg_hi:[1,0,0]
	v_bfi_b32 v13, s4, v36, v13
	v_bfi_b32 v7, s4, v29, v7
	;; [unrolled: 1-line block ×3, first 2 shown]
	v_pk_add_f16 v13, v6, v13 neg_lo:[0,1] neg_hi:[0,1]
	v_pk_add_f16 v7, v4, v7 neg_lo:[0,1] neg_hi:[0,1]
	;; [unrolled: 1-line block ×5, first 2 shown]
	v_pk_fma_f16 v6, v6, 2.0, v13 op_sel_hi:[1,0,1] neg_lo:[0,0,1] neg_hi:[0,0,1]
	v_pk_fma_f16 v4, v4, 2.0, v7 op_sel_hi:[1,0,1] neg_lo:[0,0,1] neg_hi:[0,0,1]
	v_pk_fma_f16 v21, v21, 2.0, v22 op_sel_hi:[1,0,1] neg_lo:[0,0,1] neg_hi:[0,0,1]
	v_pk_fma_f16 v20, v20, 2.0, v9 op_sel_hi:[1,0,1] neg_lo:[0,0,1] neg_hi:[0,0,1]
	v_pk_fma_f16 v5, v5, 2.0, v8 op_sel_hi:[1,0,1] neg_lo:[0,0,1] neg_hi:[0,0,1]
	ds_write2_b32 v28, v4, v7 offset1:11
	ds_write2_b32 v27, v5, v8 offset1:11
	;; [unrolled: 1-line block ×5, first 2 shown]
	v_add_u32_e32 v6, 0xa00, v14
	v_add_u32_e32 v8, 0x1400, v14
	s_waitcnt lgkmcnt(0)
	s_barrier
	ds_read2_b32 v[4:5], v14 offset1:198
	ds_read2_b32 v[6:7], v6 offset0:20 offset1:218
	ds_read2_b32 v[8:9], v8 offset0:40 offset1:238
	ds_read_b32 v21, v14 offset:1584
	ds_read_b32 v25, v14 offset:4224
	;; [unrolled: 1-line block ×3, first 2 shown]
	s_movk_i32 s4, 0x42
	v_cmp_gt_u32_e32 vcc, s4, v0
	v_lshrrev_b32_e32 v20, 16, v13
                                        ; implicit-def: $vgpr27
                                        ; implicit-def: $vgpr26
	s_and_saveexec_b64 s[4:5], vcc
	s_cbranch_execz .LBB0_15
; %bb.14:
	ds_read_b32 v13, v14 offset:2376
	ds_read_b32 v26, v14 offset:7656
	;; [unrolled: 1-line block ×3, first 2 shown]
	s_waitcnt lgkmcnt(2)
	v_lshrrev_b32_e32 v20, 16, v13
	s_waitcnt lgkmcnt(1)
	v_lshrrev_b32_e32 v27, 16, v26
	;; [unrolled: 2-line block ×3, first 2 shown]
.LBB0_15:
	s_or_b64 exec, exec, s[4:5]
	v_lshrrev_b16_e32 v22, 1, v0
	v_and_b32_e32 v22, 0x7f, v22
	v_mul_lo_u16_e32 v22, 0xbb, v22
	v_lshrrev_b16_e32 v34, 11, v22
	v_lshrrev_b32_e32 v36, 20, v19
	v_mul_lo_u16_e32 v22, 22, v34
	v_mul_lo_u16_e32 v19, 22, v36
	v_sub_u16_e32 v35, v0, v22
	v_mov_b32_e32 v22, 3
	v_sub_u16_e32 v37, v12, v19
	v_lshlrev_b32_sdwa v22, v22, v35 dst_sel:DWORD dst_unused:UNUSED_PAD src0_sel:DWORD src1_sel:BYTE_0
	v_lshlrev_b32_e32 v19, 3, v37
	v_lshrrev_b32_e32 v38, 20, v18
	global_load_dwordx2 v[28:29], v22, s[8:9] offset:44
	s_waitcnt lgkmcnt(4)
	v_lshrrev_b32_e32 v42, 16, v6
	global_load_dwordx2 v[18:19], v19, s[8:9] offset:44
	v_mul_lo_u16_e32 v22, 22, v38
	v_sub_u16_e32 v39, v11, v22
	v_lshrrev_b32_e32 v22, 20, v16
	v_lshlrev_b32_e32 v23, 3, v39
	v_mul_lo_u16_e32 v16, 22, v22
	global_load_dwordx2 v[30:31], v23, s[8:9] offset:44
	v_sub_u16_e32 v23, v10, v16
	v_lshlrev_b32_e32 v16, 3, v23
	global_load_dwordx2 v[32:33], v16, s[8:9] offset:44
	s_waitcnt lgkmcnt(3)
	v_lshrrev_b32_e32 v43, 16, v8
	v_lshrrev_b32_e32 v44, 16, v7
	;; [unrolled: 1-line block ×3, first 2 shown]
	s_waitcnt lgkmcnt(1)
	v_lshrrev_b32_e32 v46, 16, v25
	s_waitcnt lgkmcnt(0)
	v_lshrrev_b32_e32 v47, 16, v24
	v_lshrrev_b32_e32 v16, 16, v4
	;; [unrolled: 1-line block ×3, first 2 shown]
	s_mov_b32 s4, 0xbaee
	s_movk_i32 s5, 0x3aee
	v_lshrrev_b32_e32 v41, 16, v21
	v_lshlrev_b32_sdwa v17, v17, v35 dst_sel:DWORD dst_unused:UNUSED_PAD src0_sel:DWORD src1_sel:BYTE_0
	s_waitcnt vmcnt(0)
	s_barrier
	v_mul_f16_sdwa v48, v28, v42 dst_sel:DWORD dst_unused:UNUSED_PAD src0_sel:WORD_1 src1_sel:DWORD
	v_mul_f16_sdwa v50, v29, v43 dst_sel:DWORD dst_unused:UNUSED_PAD src0_sel:WORD_1 src1_sel:DWORD
	;; [unrolled: 1-line block ×8, first 2 shown]
	v_fma_f16 v6, v28, v6, v48
	v_fma_f16 v8, v29, v8, v50
	v_mul_f16_sdwa v56, v30, v46 dst_sel:DWORD dst_unused:UNUSED_PAD src0_sel:WORD_1 src1_sel:DWORD
	v_mul_f16_sdwa v60, v15, v32 dst_sel:DWORD dst_unused:UNUSED_PAD src0_sel:DWORD src1_sel:WORD_1
	v_mul_f16_sdwa v61, v1, v32 dst_sel:DWORD dst_unused:UNUSED_PAD src0_sel:DWORD src1_sel:WORD_1
	v_mul_f16_sdwa v57, v30, v25 dst_sel:DWORD dst_unused:UNUSED_PAD src0_sel:WORD_1 src1_sel:DWORD
	v_mul_f16_sdwa v58, v31, v47 dst_sel:DWORD dst_unused:UNUSED_PAD src0_sel:WORD_1 src1_sel:DWORD
	;; [unrolled: 1-line block ×3, first 2 shown]
	v_mul_f16_sdwa v62, v27, v33 dst_sel:DWORD dst_unused:UNUSED_PAD src0_sel:DWORD src1_sel:WORD_1
	v_mul_f16_sdwa v63, v26, v33 dst_sel:DWORD dst_unused:UNUSED_PAD src0_sel:DWORD src1_sel:WORD_1
	v_fma_f16 v28, v28, v42, -v49
	v_fma_f16 v29, v29, v43, -v51
	v_fma_f16 v7, v18, v7, v52
	v_fma_f16 v18, v18, v44, -v53
	v_fma_f16 v9, v19, v9, v54
	;; [unrolled: 2-line block ×3, first 2 shown]
	v_fma_f16 v32, v15, v32, -v61
	v_add_f16_e32 v1, v4, v6
	v_add_f16_e32 v15, v6, v8
	v_fma_f16 v25, v30, v25, v56
	v_fma_f16 v30, v30, v46, -v57
	v_fma_f16 v24, v31, v24, v58
	v_fma_f16 v31, v31, v47, -v59
	;; [unrolled: 2-line block ×3, first 2 shown]
	v_sub_f16_e32 v33, v28, v29
	v_add_f16_e32 v43, v16, v28
	v_add_f16_e32 v28, v28, v29
	v_sub_f16_e32 v6, v6, v8
	v_sub_f16_e32 v46, v18, v19
	v_add_f16_e32 v47, v40, v18
	v_add_f16_e32 v18, v18, v19
	;; [unrolled: 1-line block ×3, first 2 shown]
	v_fma_f16 v1, v15, -0.5, v4
	v_add_f16_e32 v44, v5, v7
	v_fma_f16 v15, v28, -0.5, v16
	v_fma_f16 v16, v18, -0.5, v40
	v_fma_f16 v40, v33, s4, v1
	v_fma_f16 v33, v33, s5, v1
	v_sub_f16_e32 v1, v7, v9
	v_add_f16_e32 v45, v7, v9
	v_add_f16_e32 v28, v44, v9
	v_fma_f16 v7, v1, s5, v16
	v_fma_f16 v9, v1, s4, v16
	v_add_f16_e32 v1, v21, v25
	v_fma_f16 v5, v45, -0.5, v5
	v_add_f16_e32 v45, v1, v24
	v_add_f16_e32 v1, v25, v24
	;; [unrolled: 1-line block ×3, first 2 shown]
	v_fma_f16 v43, v6, s5, v15
	v_fma_f16 v6, v6, s4, v15
	v_fma_f16 v1, v1, -0.5, v21
	v_sub_f16_e32 v15, v30, v31
	v_fma_f16 v44, v46, s4, v5
	v_fma_f16 v5, v46, s5, v5
	v_fma_f16 v21, v15, s4, v1
	v_fma_f16 v46, v15, s5, v1
	v_add_f16_e32 v1, v41, v30
	v_add_f16_e32 v29, v47, v19
	;; [unrolled: 1-line block ×4, first 2 shown]
	v_fma_f16 v1, v1, -0.5, v41
	v_sub_f16_e32 v15, v25, v24
	v_fma_f16 v24, v15, s5, v1
	v_fma_f16 v25, v15, s4, v1
	v_add_f16_e32 v15, v42, v26
	v_add_f16_e32 v1, v13, v42
	v_fma_f16 v13, v15, -0.5, v13
	v_sub_f16_e32 v15, v32, v27
	v_add_f16_e32 v18, v32, v27
	v_fma_f16 v16, v15, s4, v13
	v_fma_f16 v15, v15, s5, v13
	v_add_f16_e32 v13, v20, v32
	v_fma_f16 v18, v18, -0.5, v20
	v_sub_f16_e32 v20, v42, v26
	v_fma_f16 v19, v20, s5, v18
	v_fma_f16 v18, v20, s4, v18
	v_mul_u32_u24_e32 v20, 0x108, v34
	v_add3_u32 v17, 0, v20, v17
	v_pack_b32_f16 v4, v8, v4
	v_pack_b32_f16 v8, v40, v43
	ds_write2_b32 v17, v4, v8 offset1:22
	v_pack_b32_f16 v4, v33, v6
	ds_write_b32 v17, v4 offset:176
	v_mul_u32_u24_e32 v4, 0x108, v36
	v_lshlrev_b32_e32 v6, 2, v37
	v_add3_u32 v4, 0, v4, v6
	v_pack_b32_f16 v6, v28, v29
	v_pack_b32_f16 v7, v44, v7
	;; [unrolled: 1-line block ×3, first 2 shown]
	ds_write2_b32 v4, v6, v7 offset1:22
	ds_write_b32 v4, v5 offset:176
	v_mul_u32_u24_e32 v4, 0x108, v38
	v_lshlrev_b32_e32 v5, 2, v39
	v_add3_u32 v4, 0, v4, v5
	v_pack_b32_f16 v5, v45, v47
	v_pack_b32_f16 v6, v21, v24
	v_add_f16_e32 v1, v1, v26
	v_add_f16_e32 v13, v13, v27
	ds_write2_b32 v4, v5, v6 offset1:22
	v_pack_b32_f16 v5, v46, v25
	ds_write_b32 v4, v5 offset:176
	s_and_saveexec_b64 s[4:5], vcc
	s_cbranch_execz .LBB0_17
; %bb.16:
	v_mul_lo_u16_e32 v4, 0x42, v22
	v_lshlrev_b32_e32 v5, 2, v23
	v_lshlrev_b32_e32 v4, 2, v4
	s_mov_b32 s6, 0x5040100
	v_add3_u32 v4, 0, v5, v4
	v_perm_b32 v5, v13, v1, s6
	v_perm_b32 v6, v19, v16, s6
	ds_write2_b32 v4, v5, v6 offset1:22
	v_perm_b32 v5, v18, v15, s6
	ds_write_b32 v4, v5 offset:176
.LBB0_17:
	s_or_b64 exec, exec, s[4:5]
	v_add_u32_e32 v6, 0xa00, v14
	v_add_u32_e32 v8, 0x1400, v14
	s_waitcnt lgkmcnt(0)
	s_barrier
	ds_read2_b32 v[4:5], v14 offset1:198
	ds_read2_b32 v[6:7], v6 offset0:20 offset1:218
	ds_read2_b32 v[8:9], v8 offset0:40 offset1:238
	ds_read_b32 v17, v14 offset:1584
	ds_read_b32 v21, v14 offset:4224
	;; [unrolled: 1-line block ×3, first 2 shown]
	s_and_saveexec_b64 s[4:5], vcc
	s_cbranch_execz .LBB0_19
; %bb.18:
	ds_read_b32 v1, v14 offset:2376
	ds_read_b32 v15, v14 offset:7656
	;; [unrolled: 1-line block ×3, first 2 shown]
	s_waitcnt lgkmcnt(2)
	v_lshrrev_b32_e32 v13, 16, v1
	s_waitcnt lgkmcnt(1)
	v_lshrrev_b32_e32 v18, 16, v15
	;; [unrolled: 2-line block ×3, first 2 shown]
.LBB0_19:
	s_or_b64 exec, exec, s[4:5]
	s_mov_b32 s11, 0xf83f
	s_movk_i32 s4, 0xf9
	v_mul_u32_u24_sdwa v23, v12, s11 dst_sel:DWORD dst_unused:UNUSED_PAD src0_sel:WORD_0 src1_sel:DWORD
	v_mul_lo_u16_sdwa v22, v0, s4 dst_sel:DWORD dst_unused:UNUSED_PAD src0_sel:BYTE_0 src1_sel:DWORD
	v_lshrrev_b32_e32 v28, 22, v23
	v_lshrrev_b16_e32 v26, 14, v22
	v_mul_lo_u16_e32 v23, 0x42, v28
	v_mul_lo_u16_e32 v22, 0x42, v26
	v_sub_u16_e32 v29, v12, v23
	v_mul_u32_u24_sdwa v24, v11, s11 dst_sel:DWORD dst_unused:UNUSED_PAD src0_sel:WORD_0 src1_sel:DWORD
	v_sub_u16_e32 v27, v0, v22
	v_mov_b32_e32 v22, 3
	v_lshlrev_b32_e32 v12, 3, v29
	v_lshrrev_b32_e32 v30, 22, v24
	v_lshlrev_b32_sdwa v22, v22, v27 dst_sel:DWORD dst_unused:UNUSED_PAD src0_sel:DWORD src1_sel:BYTE_0
	global_load_dwordx2 v[24:25], v12, s[8:9] offset:220
	v_mul_lo_u16_e32 v12, 0x42, v30
	global_load_dwordx2 v[22:23], v22, s[8:9] offset:220
	v_sub_u16_e32 v31, v11, v12
	v_lshlrev_b32_e32 v11, 3, v31
	global_load_dwordx2 v[11:12], v11, s[8:9] offset:220
	s_waitcnt lgkmcnt(4)
	v_lshrrev_b32_e32 v35, 16, v6
	s_waitcnt lgkmcnt(3)
	v_lshrrev_b32_e32 v36, 16, v8
	v_lshrrev_b32_e32 v37, 16, v7
	;; [unrolled: 1-line block ×3, first 2 shown]
	s_waitcnt lgkmcnt(1)
	v_lshrrev_b32_e32 v39, 16, v21
	s_waitcnt lgkmcnt(0)
	v_lshrrev_b32_e32 v40, 16, v20
	v_lshrrev_b32_e32 v33, 16, v5
	;; [unrolled: 1-line block ×4, first 2 shown]
	s_mov_b32 s7, 0xbaee
	s_movk_i32 s10, 0x3aee
	s_waitcnt vmcnt(0)
	s_barrier
	s_mov_b32 s6, 0xffff
	v_mul_f16_sdwa v45, v24, v37 dst_sel:DWORD dst_unused:UNUSED_PAD src0_sel:WORD_1 src1_sel:DWORD
	v_mul_f16_sdwa v46, v24, v7 dst_sel:DWORD dst_unused:UNUSED_PAD src0_sel:WORD_1 src1_sel:DWORD
	;; [unrolled: 1-line block ×8, first 2 shown]
	v_fma_f16 v6, v22, v6, v41
	v_fma_f16 v8, v23, v8, v43
	v_mul_f16_sdwa v49, v11, v39 dst_sel:DWORD dst_unused:UNUSED_PAD src0_sel:WORD_1 src1_sel:DWORD
	v_mul_f16_sdwa v50, v11, v21 dst_sel:DWORD dst_unused:UNUSED_PAD src0_sel:WORD_1 src1_sel:DWORD
	;; [unrolled: 1-line block ×4, first 2 shown]
	v_fma_f16 v22, v22, v35, -v42
	v_fma_f16 v23, v23, v36, -v44
	v_fma_f16 v7, v24, v7, v45
	v_fma_f16 v24, v24, v37, -v46
	v_fma_f16 v9, v25, v9, v47
	v_fma_f16 v25, v25, v38, -v48
	v_add_f16_e32 v36, v6, v8
	v_fma_f16 v21, v11, v21, v49
	v_fma_f16 v11, v11, v39, -v50
	v_fma_f16 v20, v12, v20, v51
	v_fma_f16 v12, v12, v40, -v52
	v_add_f16_e32 v35, v4, v6
	v_sub_f16_e32 v37, v22, v23
	v_sub_f16_e32 v41, v24, v25
	v_add_f16_e32 v42, v33, v24
	v_add_f16_e32 v24, v24, v25
	v_fma_f16 v4, v36, -0.5, v4
	v_add_f16_e32 v38, v32, v22
	v_add_f16_e32 v22, v22, v23
	v_sub_f16_e32 v45, v11, v12
	v_fma_f16 v24, v24, -0.5, v33
	v_fma_f16 v33, v37, s7, v4
	v_fma_f16 v4, v37, s10, v4
	v_add_f16_e32 v37, v34, v11
	v_add_f16_e32 v11, v11, v12
	v_sub_f16_e32 v6, v6, v8
	v_add_f16_e32 v43, v17, v21
	v_add_f16_e32 v44, v21, v20
	v_fma_f16 v22, v22, -0.5, v32
	v_add_f16_e32 v37, v37, v12
	v_fma_f16 v11, v11, -0.5, v34
	v_sub_f16_e32 v12, v21, v20
	v_mov_b32_e32 v21, 2
	v_add_f16_e32 v40, v7, v9
	v_add_f16_e32 v8, v35, v8
	;; [unrolled: 1-line block ×3, first 2 shown]
	v_fma_f16 v35, v6, s10, v22
	v_fma_f16 v6, v6, s7, v22
	;; [unrolled: 1-line block ×4, first 2 shown]
	v_mul_u32_u24_e32 v12, 0x318, v26
	v_lshlrev_b32_sdwa v21, v21, v27 dst_sel:DWORD dst_unused:UNUSED_PAD src0_sel:DWORD src1_sel:BYTE_0
	v_add_f16_e32 v39, v5, v7
	v_sub_f16_e32 v7, v7, v9
	v_add_f16_e32 v23, v38, v23
	v_fma_f16 v5, v40, -0.5, v5
	v_add3_u32 v12, 0, v12, v21
	v_pack_b32_f16 v4, v4, v6
	v_add_f16_e32 v9, v39, v9
	v_add_f16_e32 v25, v42, v25
	v_fma_f16 v22, v41, s7, v5
	v_fma_f16 v5, v41, s10, v5
	;; [unrolled: 1-line block ×4, first 2 shown]
	v_pack_b32_f16 v8, v8, v23
	v_pack_b32_f16 v21, v33, v35
	ds_write_b32 v12, v4 offset:528
	v_mul_u32_u24_e32 v4, 0x318, v28
	v_lshlrev_b32_e32 v6, 2, v29
	v_fma_f16 v17, v44, -0.5, v17
	ds_write2_b32 v12, v8, v21 offset1:66
	v_add3_u32 v4, 0, v4, v6
	v_pack_b32_f16 v6, v9, v25
	v_pack_b32_f16 v8, v22, v36
	;; [unrolled: 1-line block ×3, first 2 shown]
	v_fma_f16 v24, v45, s7, v17
	ds_write2_b32 v4, v6, v8 offset1:66
	ds_write_b32 v4, v5 offset:528
	v_mul_u32_u24_e32 v4, 0x318, v30
	v_lshlrev_b32_e32 v5, 2, v31
	v_fma_f16 v17, v45, s10, v17
	v_add3_u32 v4, 0, v4, v5
	v_pack_b32_f16 v5, v32, v37
	v_pack_b32_f16 v6, v24, v20
	ds_write2_b32 v4, v5, v6 offset1:66
	v_pack_b32_f16 v5, v17, v11
	ds_write_b32 v4, v5 offset:528
	s_and_saveexec_b64 s[4:5], vcc
	s_cbranch_execz .LBB0_21
; %bb.20:
	v_mul_u32_u24_sdwa v4, v10, s11 dst_sel:DWORD dst_unused:UNUSED_PAD src0_sel:WORD_0 src1_sel:DWORD
	v_lshrrev_b32_e32 v4, 22, v4
	v_mul_lo_u16_e32 v4, 0x42, v4
	v_sub_u16_e32 v6, v10, v4
	v_lshlrev_b32_e32 v4, 3, v6
	global_load_dwordx2 v[4:5], v4, s[8:9] offset:220
	v_lshl_add_u32 v6, v6, 2, 0
	v_add_u32_e32 v7, 0x1a00, v6
	s_waitcnt vmcnt(0)
	v_mul_f16_sdwa v8, v15, v5 dst_sel:DWORD dst_unused:UNUSED_PAD src0_sel:DWORD src1_sel:WORD_1
	v_mul_f16_sdwa v9, v16, v4 dst_sel:DWORD dst_unused:UNUSED_PAD src0_sel:DWORD src1_sel:WORD_1
	;; [unrolled: 1-line block ×4, first 2 shown]
	v_fma_f16 v8, v18, v5, -v8
	v_fma_f16 v9, v19, v4, -v9
	v_fma_f16 v4, v16, v4, v10
	v_fma_f16 v5, v15, v5, v11
	v_add_f16_e32 v10, v13, v9
	v_add_f16_e32 v11, v1, v4
	;; [unrolled: 1-line block ×3, first 2 shown]
	v_sub_f16_e32 v15, v4, v5
	v_add_f16_e32 v4, v4, v5
	v_sub_f16_e32 v9, v9, v8
	v_add_f16_e32 v8, v10, v8
	v_fma_f16 v10, v12, -0.5, v13
	v_fma_f16 v1, v4, -0.5, v1
	v_add_f16_e32 v5, v11, v5
	v_fma_f16 v4, v15, s7, v10
	v_fma_f16 v10, v15, s10, v10
	;; [unrolled: 1-line block ×4, first 2 shown]
	v_pack_b32_f16 v5, v5, v8
	v_pack_b32_f16 v1, v1, v10
	;; [unrolled: 1-line block ×3, first 2 shown]
	ds_write2_b32 v7, v5, v1 offset0:118 offset1:184
	ds_write_b32 v6, v4 offset:7656
.LBB0_21:
	s_or_b64 exec, exec, s[4:5]
	v_lshlrev_b32_e32 v8, 2, v0
	v_mov_b32_e32 v9, 0
	v_lshlrev_b64 v[4:5], 2, v[8:9]
	v_mov_b32_e32 v21, s9
	v_add_co_u32_e32 v4, vcc, s8, v4
	v_addc_co_u32_e32 v5, vcc, v21, v5, vcc
	s_waitcnt lgkmcnt(0)
	s_barrier
	global_load_dwordx4 v[4:7], v[4:5], off offset:748
	v_add_u32_e32 v22, 0x600, v14
	ds_read2_b32 v[10:11], v14 offset1:198
	v_add_u32_e32 v23, 0xc00, v14
	v_add_u32_e32 v24, 0x1200, v14
	;; [unrolled: 1-line block ×3, first 2 shown]
	ds_read2_b32 v[12:13], v22 offset0:12 offset1:210
	ds_read2_b32 v[15:16], v23 offset0:24 offset1:222
	;; [unrolled: 1-line block ×4, first 2 shown]
	s_mov_b32 s4, 0xbb9c
	s_waitcnt lgkmcnt(3)
	v_lshrrev_b32_e32 v30, 16, v12
	s_waitcnt lgkmcnt(2)
	v_lshrrev_b32_e32 v31, 16, v15
	;; [unrolled: 2-line block ×3, first 2 shown]
	v_lshrrev_b32_e32 v28, 16, v18
	s_waitcnt lgkmcnt(0)
	v_lshrrev_b32_e32 v33, 16, v19
	v_lshrrev_b32_e32 v29, 16, v20
	;; [unrolled: 1-line block ×4, first 2 shown]
	s_movk_i32 s10, 0x3b9c
	s_mov_b32 s5, 0xb8b4
	s_movk_i32 s11, 0x38b4
	v_lshrrev_b32_e32 v1, 16, v10
	s_movk_i32 s7, 0x34f2
	v_lshrrev_b32_e32 v26, 16, v11
	s_waitcnt vmcnt(0)
	s_barrier
	v_mul_f16_sdwa v37, v5, v31 dst_sel:DWORD dst_unused:UNUSED_PAD src0_sel:WORD_1 src1_sel:DWORD
	v_mul_f16_sdwa v39, v6, v32 dst_sel:DWORD dst_unused:UNUSED_PAD src0_sel:WORD_1 src1_sel:DWORD
	;; [unrolled: 1-line block ×8, first 2 shown]
	v_mul_f16_sdwa v47, v28, v6 dst_sel:DWORD dst_unused:UNUSED_PAD src0_sel:DWORD src1_sel:WORD_1
	v_mul_f16_sdwa v48, v18, v6 dst_sel:DWORD dst_unused:UNUSED_PAD src0_sel:DWORD src1_sel:WORD_1
	v_fma_f16 v15, v5, v15, v37
	v_fma_f16 v17, v6, v17, v39
	v_mul_f16_sdwa v49, v29, v7 dst_sel:DWORD dst_unused:UNUSED_PAD src0_sel:DWORD src1_sel:WORD_1
	v_mul_f16_sdwa v50, v20, v7 dst_sel:DWORD dst_unused:UNUSED_PAD src0_sel:DWORD src1_sel:WORD_1
	v_fma_f16 v12, v4, v12, v35
	v_fma_f16 v30, v4, v30, -v36
	v_fma_f16 v32, v6, v32, -v40
	v_fma_f16 v19, v7, v19, v41
	v_fma_f16 v33, v7, v33, -v42
	v_fma_f16 v18, v18, v6, v47
	v_fma_f16 v6, v28, v6, -v48
	v_add_f16_e32 v28, v15, v17
	v_mul_f16_sdwa v43, v4, v34 dst_sel:DWORD dst_unused:UNUSED_PAD src0_sel:WORD_1 src1_sel:DWORD
	v_mul_f16_sdwa v44, v4, v13 dst_sel:DWORD dst_unused:UNUSED_PAD src0_sel:WORD_1 src1_sel:DWORD
	v_mul_f16_sdwa v45, v27, v5 dst_sel:DWORD dst_unused:UNUSED_PAD src0_sel:DWORD src1_sel:WORD_1
	v_mul_f16_sdwa v46, v16, v5 dst_sel:DWORD dst_unused:UNUSED_PAD src0_sel:DWORD src1_sel:WORD_1
	v_fma_f16 v31, v5, v31, -v38
	v_fma_f16 v20, v20, v7, v49
	v_fma_f16 v7, v29, v7, -v50
	v_sub_f16_e32 v29, v30, v33
	v_sub_f16_e32 v35, v12, v15
	v_sub_f16_e32 v36, v19, v17
	v_add_f16_e32 v37, v12, v19
	v_fma_f16 v28, v28, -0.5, v10
	v_fma_f16 v13, v4, v13, v43
	v_fma_f16 v4, v4, v34, -v44
	v_fma_f16 v16, v16, v5, v45
	v_fma_f16 v5, v27, v5, -v46
	v_add_f16_e32 v27, v10, v12
	v_sub_f16_e32 v34, v31, v32
	v_add_f16_e32 v35, v35, v36
	v_fma_f16 v10, v37, -0.5, v10
	v_fma_f16 v36, v29, s4, v28
	v_fma_f16 v28, v29, s10, v28
	v_add_f16_e32 v27, v27, v15
	v_fma_f16 v37, v34, s10, v10
	v_fma_f16 v36, v34, s5, v36
	;; [unrolled: 1-line block ×4, first 2 shown]
	v_add_f16_e32 v34, v31, v32
	v_sub_f16_e32 v38, v15, v12
	v_sub_f16_e32 v39, v17, v19
	v_add_f16_e32 v27, v27, v17
	v_fma_f16 v34, v34, -0.5, v1
	v_sub_f16_e32 v12, v12, v19
	v_add_f16_e32 v27, v27, v19
	v_fma_f16 v37, v29, s5, v37
	v_fma_f16 v36, v35, s7, v36
	v_fma_f16 v28, v35, s7, v28
	v_add_f16_e32 v35, v38, v39
	v_fma_f16 v10, v29, s11, v10
	v_fma_f16 v19, v12, s10, v34
	v_sub_f16_e32 v15, v15, v17
	v_fma_f16 v37, v35, s7, v37
	v_fma_f16 v10, v35, s7, v10
	;; [unrolled: 1-line block ×3, first 2 shown]
	v_sub_f16_e32 v19, v30, v31
	v_sub_f16_e32 v35, v33, v32
	v_fma_f16 v34, v12, s4, v34
	v_add_f16_e32 v19, v19, v35
	v_fma_f16 v34, v15, s5, v34
	v_fma_f16 v17, v19, s7, v17
	;; [unrolled: 1-line block ×3, first 2 shown]
	v_add_f16_e32 v34, v30, v33
	v_add_f16_e32 v29, v1, v30
	v_fma_f16 v1, v34, -0.5, v1
	v_add_f16_e32 v29, v29, v31
	v_fma_f16 v34, v15, s4, v1
	v_sub_f16_e32 v30, v31, v30
	v_sub_f16_e32 v31, v32, v33
	v_fma_f16 v1, v15, s10, v1
	v_fma_f16 v34, v12, s11, v34
	v_add_f16_e32 v30, v30, v31
	v_fma_f16 v1, v12, s5, v1
	v_add_f16_e32 v15, v16, v18
	v_add_f16_e32 v29, v29, v32
	v_fma_f16 v31, v30, s7, v34
	v_fma_f16 v1, v30, s7, v1
	v_fma_f16 v15, v15, -0.5, v11
	v_sub_f16_e32 v30, v4, v7
	v_add_f16_e32 v29, v29, v33
	v_fma_f16 v32, v30, s4, v15
	v_sub_f16_e32 v33, v5, v6
	v_sub_f16_e32 v34, v13, v16
	;; [unrolled: 1-line block ×3, first 2 shown]
	v_fma_f16 v15, v30, s10, v15
	v_fma_f16 v32, v33, s5, v32
	v_add_f16_e32 v34, v34, v35
	v_fma_f16 v15, v33, s11, v15
	v_fma_f16 v32, v34, s7, v32
	;; [unrolled: 1-line block ×3, first 2 shown]
	v_add_f16_e32 v34, v13, v20
	v_add_f16_e32 v12, v11, v13
	v_fma_f16 v11, v34, -0.5, v11
	v_add_f16_e32 v12, v12, v16
	v_fma_f16 v34, v33, s10, v11
	v_fma_f16 v11, v33, s4, v11
	v_add_f16_e32 v33, v5, v6
	v_add_f16_e32 v12, v12, v18
	v_sub_f16_e32 v35, v16, v13
	v_sub_f16_e32 v38, v18, v20
	v_fma_f16 v33, v33, -0.5, v26
	v_sub_f16_e32 v13, v13, v20
	v_add_f16_e32 v12, v12, v20
	v_fma_f16 v34, v30, s5, v34
	v_add_f16_e32 v35, v35, v38
	v_fma_f16 v11, v30, s11, v11
	v_fma_f16 v20, v13, s10, v33
	v_sub_f16_e32 v16, v16, v18
	v_fma_f16 v34, v35, s7, v34
	v_fma_f16 v11, v35, s7, v11
	;; [unrolled: 1-line block ×3, first 2 shown]
	v_sub_f16_e32 v20, v4, v5
	v_sub_f16_e32 v35, v7, v6
	v_fma_f16 v33, v13, s4, v33
	v_add_f16_e32 v20, v20, v35
	v_fma_f16 v33, v16, s5, v33
	v_add_f16_e32 v30, v26, v4
	v_fma_f16 v18, v20, s7, v18
	v_fma_f16 v20, v20, s7, v33
	v_add_f16_e32 v33, v4, v7
	v_add_f16_e32 v30, v30, v5
	v_fma_f16 v26, v33, -0.5, v26
	v_add_f16_e32 v30, v30, v6
	v_fma_f16 v33, v16, s4, v26
	v_sub_f16_e32 v4, v5, v4
	v_sub_f16_e32 v5, v6, v7
	v_fma_f16 v6, v16, s10, v26
	v_fma_f16 v33, v13, s11, v33
	v_add_f16_e32 v4, v4, v5
	v_fma_f16 v6, v13, s5, v6
	v_add_f16_e32 v30, v30, v7
	v_fma_f16 v5, v4, s7, v33
	v_fma_f16 v4, v4, s7, v6
	v_pack_b32_f16 v6, v27, v29
	v_pack_b32_f16 v7, v36, v17
	ds_write2_b32 v14, v6, v7 offset1:198
	v_pack_b32_f16 v6, v37, v31
	v_pack_b32_f16 v1, v10, v1
	ds_write2_b32 v22, v6, v1 offset0:12 offset1:210
	v_pack_b32_f16 v1, v28, v19
	v_pack_b32_f16 v6, v12, v30
	ds_write2_b32 v23, v1, v6 offset0:24 offset1:222
	;; [unrolled: 3-line block ×4, first 2 shown]
	v_mov_b32_e32 v1, v9
	v_lshlrev_b64 v[4:5], 2, v[0:1]
	s_waitcnt lgkmcnt(0)
	v_add_co_u32_e32 v6, vcc, s8, v4
	v_addc_co_u32_e32 v7, vcc, v21, v5, vcc
	s_barrier
	global_load_dword v1, v[6:7], off offset:3916
	s_movk_i32 s4, 0x1000
	v_add_co_u32_e32 v6, vcc, s4, v6
	v_addc_co_u32_e32 v7, vcc, 0, v7, vcc
	global_load_dword v13, v[6:7], off offset:612
	global_load_dword v19, v[6:7], off offset:1404
	;; [unrolled: 1-line block ×4, first 2 shown]
	ds_read2_b32 v[6:7], v23 offset0:24 offset1:222
	ds_read2_b32 v[9:10], v14 offset1:198
	ds_read2_b32 v[11:12], v24 offset0:36 offset1:234
	ds_read2_b32 v[15:16], v22 offset0:12 offset1:210
	;; [unrolled: 1-line block ×3, first 2 shown]
	s_waitcnt vmcnt(0) lgkmcnt(0)
	s_barrier
	v_cmp_ne_u32_e32 vcc, 0, v0
	v_pk_mul_f16 v26, v1, v7 op_sel:[0,1]
	v_pk_fma_f16 v27, v1, v7, v26 op_sel:[0,0,1] op_sel_hi:[1,1,0]
	v_pk_fma_f16 v1, v1, v7, v26 op_sel:[0,0,1] op_sel_hi:[1,0,0] neg_lo:[1,0,0] neg_hi:[1,0,0]
	v_bfi_b32 v1, s6, v27, v1
	v_pk_add_f16 v1, v9, v1 neg_lo:[0,1] neg_hi:[0,1]
	v_pk_fma_f16 v7, v9, 2.0, v1 op_sel_hi:[1,0,1] neg_lo:[0,0,1] neg_hi:[0,0,1]
	v_pk_mul_f16 v9, v13, v11 op_sel:[0,1]
	v_pk_fma_f16 v26, v13, v11, v9 op_sel:[0,0,1] op_sel_hi:[1,1,0]
	v_pk_fma_f16 v9, v13, v11, v9 op_sel:[0,0,1] op_sel_hi:[1,0,0] neg_lo:[1,0,0] neg_hi:[1,0,0]
	v_pk_mul_f16 v11, v19, v12 op_sel:[0,1]
	v_pk_fma_f16 v13, v19, v12, v11 op_sel:[0,0,1] op_sel_hi:[1,1,0]
	v_pk_fma_f16 v11, v19, v12, v11 op_sel:[0,0,1] op_sel_hi:[1,0,0] neg_lo:[1,0,0] neg_hi:[1,0,0]
	v_bfi_b32 v11, s6, v13, v11
	v_pk_add_f16 v11, v15, v11 neg_lo:[0,1] neg_hi:[0,1]
	v_pk_mul_f16 v13, v20, v17 op_sel:[0,1]
	v_pk_fma_f16 v12, v15, 2.0, v11 op_sel_hi:[1,0,1] neg_lo:[0,0,1] neg_hi:[0,0,1]
	v_pk_fma_f16 v15, v20, v17, v13 op_sel:[0,0,1] op_sel_hi:[1,1,0]
	v_pk_fma_f16 v13, v20, v17, v13 op_sel:[0,0,1] op_sel_hi:[1,0,0] neg_lo:[1,0,0] neg_hi:[1,0,0]
	v_bfi_b32 v13, s6, v15, v13
	v_pk_add_f16 v13, v16, v13 neg_lo:[0,1] neg_hi:[0,1]
	v_pk_fma_f16 v15, v16, 2.0, v13 op_sel_hi:[1,0,1] neg_lo:[0,0,1] neg_hi:[0,0,1]
	v_pk_mul_f16 v16, v21, v18 op_sel:[0,1]
	v_bfi_b32 v9, s6, v26, v9
	v_pk_fma_f16 v17, v21, v18, v16 op_sel:[0,0,1] op_sel_hi:[1,1,0]
	v_pk_fma_f16 v16, v21, v18, v16 op_sel:[0,0,1] op_sel_hi:[1,0,0] neg_lo:[1,0,0] neg_hi:[1,0,0]
	v_pk_add_f16 v9, v10, v9 neg_lo:[0,1] neg_hi:[0,1]
	v_bfi_b32 v16, s6, v17, v16
	v_pk_fma_f16 v10, v10, 2.0, v9 op_sel_hi:[1,0,1] neg_lo:[0,0,1] neg_hi:[0,0,1]
	v_pk_add_f16 v16, v6, v16 neg_lo:[0,1] neg_hi:[0,1]
	v_pk_fma_f16 v6, v6, 2.0, v16 op_sel_hi:[1,0,1] neg_lo:[0,0,1] neg_hi:[0,0,1]
	ds_write2_b32 v14, v7, v10 offset1:198
	ds_write2_b32 v24, v9, v11 offset0:36 offset1:234
	ds_write2_b32 v22, v12, v15 offset0:12 offset1:210
	;; [unrolled: 1-line block ×4, first 2 shown]
	s_waitcnt lgkmcnt(0)
	s_barrier
	ds_read_b32 v9, v14
	s_add_u32 s6, s8, 0x1ec4
	s_addc_u32 s7, s9, 0
	v_sub_u32_e32 v1, 0, v8
                                        ; implicit-def: $vgpr8
                                        ; implicit-def: $vgpr6
                                        ; implicit-def: $vgpr7
	s_and_saveexec_b64 s[4:5], vcc
	s_xor_b64 s[4:5], exec, s[4:5]
	s_cbranch_execz .LBB0_23
; %bb.22:
	v_mov_b32_e32 v7, s7
	v_add_co_u32_e32 v6, vcc, s6, v4
	v_addc_co_u32_e32 v7, vcc, v7, v5, vcc
	global_load_dword v6, v[6:7], off
	ds_read_b32 v7, v1 offset:7920
	s_mov_b32 s8, 0xffff
	s_waitcnt lgkmcnt(0)
	v_pk_add_f16 v8, v9, v7 neg_lo:[0,1] neg_hi:[0,1]
	v_pk_add_f16 v7, v7, v9
	v_bfi_b32 v9, s8, v8, v7
	v_bfi_b32 v7, s8, v7, v8
	v_pk_mul_f16 v8, v9, 0.5 op_sel_hi:[1,0]
	v_pk_mul_f16 v9, v7, 0.5 op_sel_hi:[1,0]
	s_waitcnt vmcnt(0)
	v_pk_mul_f16 v10, v6, v8 op_sel:[1,0]
	v_pk_mul_f16 v11, v6, v8 op_sel_hi:[0,1]
	v_pk_fma_f16 v6, v7, 0.5, v10 op_sel_hi:[1,0,1]
	v_sub_f16_e32 v7, v9, v10
	v_sub_f16_sdwa v9, v10, v9 dst_sel:DWORD dst_unused:UNUSED_PAD src0_sel:WORD_1 src1_sel:WORD_1
	v_pk_add_f16 v8, v6, v11 op_sel:[0,1] op_sel_hi:[1,0]
	v_pk_add_f16 v10, v6, v11 op_sel:[0,1] op_sel_hi:[1,0] neg_lo:[0,1] neg_hi:[0,1]
	v_sub_f16_sdwa v6, v7, v11 dst_sel:DWORD dst_unused:UNUSED_PAD src0_sel:DWORD src1_sel:WORD_1
	v_bfi_b32 v8, s8, v8, v10
	v_sub_f16_e32 v7, v9, v11
                                        ; implicit-def: $vgpr9
.LBB0_23:
	s_andn2_saveexec_b64 s[4:5], s[4:5]
	s_cbranch_execz .LBB0_25
; %bb.24:
	v_mov_b32_e32 v7, 0
	ds_read_u16 v8, v7 offset:3962
	s_waitcnt lgkmcnt(1)
	v_alignbit_b32 v10, s0, v9, 16
	v_sub_f16_sdwa v6, v9, v9 dst_sel:DWORD dst_unused:UNUSED_PAD src0_sel:DWORD src1_sel:WORD_1
	v_pk_add_f16 v9, v10, v9
	s_waitcnt lgkmcnt(0)
	v_xor_b32_e32 v8, 0x8000, v8
	ds_write_b16 v7, v8 offset:3962
	v_pack_b32_f16 v8, v9, 0
.LBB0_25:
	s_or_b64 exec, exec, s[4:5]
	v_mov_b32_e32 v10, s7
	s_waitcnt lgkmcnt(0)
	v_add_co_u32_e32 v9, vcc, s6, v4
	v_addc_co_u32_e32 v10, vcc, v10, v5, vcc
	global_load_dword v11, v[9:10], off offset:792
	global_load_dword v12, v[9:10], off offset:1584
	;; [unrolled: 1-line block ×3, first 2 shown]
	ds_write_b16 v1, v7 offset:7922
	ds_write_b32 v14, v8
	ds_write_b16 v1, v6 offset:7920
	ds_read_b32 v6, v14 offset:792
	ds_read_b32 v7, v1 offset:7128
	global_load_dword v8, v[9:10], off offset:3168
	s_mov_b32 s4, 0xffff
	s_waitcnt lgkmcnt(0)
	v_pk_add_f16 v9, v6, v7 neg_lo:[0,1] neg_hi:[0,1]
	v_pk_add_f16 v6, v6, v7
	v_bfi_b32 v7, s4, v9, v6
	v_bfi_b32 v6, s4, v6, v9
	v_pk_mul_f16 v7, v7, 0.5 op_sel_hi:[1,0]
	v_pk_mul_f16 v9, v6, 0.5 op_sel_hi:[1,0]
	s_waitcnt vmcnt(3)
	v_pk_mul_f16 v10, v11, v7 op_sel:[1,0]
	v_pk_mul_f16 v7, v11, v7 op_sel_hi:[0,1]
	v_pk_fma_f16 v6, v6, 0.5, v10 op_sel_hi:[1,0,1]
	v_sub_f16_e32 v11, v9, v10
	v_sub_f16_sdwa v9, v10, v9 dst_sel:DWORD dst_unused:UNUSED_PAD src0_sel:WORD_1 src1_sel:WORD_1
	v_pk_add_f16 v10, v6, v7 op_sel:[0,1] op_sel_hi:[1,0]
	v_pk_add_f16 v6, v6, v7 op_sel:[0,1] op_sel_hi:[1,0] neg_lo:[0,1] neg_hi:[0,1]
	v_sub_f16_sdwa v11, v11, v7 dst_sel:DWORD dst_unused:UNUSED_PAD src0_sel:DWORD src1_sel:WORD_1
	v_sub_f16_e32 v7, v9, v7
	v_bfi_b32 v6, s4, v10, v6
	ds_write_b16 v1, v7 offset:7130
	ds_write_b32 v14, v6 offset:792
	ds_write_b16 v1, v11 offset:7128
	ds_read_b32 v6, v14 offset:1584
	ds_read_b32 v7, v1 offset:6336
	s_waitcnt lgkmcnt(0)
	v_pk_add_f16 v9, v6, v7 neg_lo:[0,1] neg_hi:[0,1]
	v_pk_add_f16 v6, v6, v7
	v_bfi_b32 v7, s4, v9, v6
	v_bfi_b32 v6, s4, v6, v9
	v_pk_mul_f16 v7, v7, 0.5 op_sel_hi:[1,0]
	v_pk_mul_f16 v9, v6, 0.5 op_sel_hi:[1,0]
	s_waitcnt vmcnt(2)
	v_pk_mul_f16 v10, v12, v7 op_sel:[1,0]
	v_pk_mul_f16 v7, v12, v7 op_sel_hi:[0,1]
	v_pk_fma_f16 v6, v6, 0.5, v10 op_sel_hi:[1,0,1]
	v_sub_f16_e32 v11, v9, v10
	v_sub_f16_sdwa v9, v10, v9 dst_sel:DWORD dst_unused:UNUSED_PAD src0_sel:WORD_1 src1_sel:WORD_1
	v_pk_add_f16 v10, v6, v7 op_sel:[0,1] op_sel_hi:[1,0]
	v_pk_add_f16 v6, v6, v7 op_sel:[0,1] op_sel_hi:[1,0] neg_lo:[0,1] neg_hi:[0,1]
	v_sub_f16_sdwa v11, v11, v7 dst_sel:DWORD dst_unused:UNUSED_PAD src0_sel:DWORD src1_sel:WORD_1
	v_sub_f16_e32 v7, v9, v7
	v_bfi_b32 v6, s4, v10, v6
	ds_write_b16 v1, v7 offset:6338
	ds_write_b32 v14, v6 offset:1584
	ds_write_b16 v1, v11 offset:6336
	ds_read_b32 v6, v14 offset:2376
	ds_read_b32 v7, v1 offset:5544
	;; [unrolled: 23-line block ×3, first 2 shown]
	s_waitcnt lgkmcnt(0)
	v_pk_add_f16 v9, v6, v7 neg_lo:[0,1] neg_hi:[0,1]
	v_pk_add_f16 v6, v6, v7
	v_bfi_b32 v7, s4, v9, v6
	v_bfi_b32 v6, s4, v6, v9
	v_pk_mul_f16 v7, v7, 0.5 op_sel_hi:[1,0]
	v_pk_mul_f16 v6, v6, 0.5 op_sel_hi:[1,0]
	s_waitcnt vmcnt(0)
	v_pk_fma_f16 v9, v8, v7, v6 op_sel:[1,0,0]
	v_pk_mul_f16 v10, v8, v7 op_sel_hi:[0,1]
	v_pk_fma_f16 v11, v8, v7, v6 op_sel:[1,0,0] neg_lo:[1,0,0] neg_hi:[1,0,0]
	v_pk_fma_f16 v6, v8, v7, v6 op_sel:[1,0,0] neg_lo:[0,0,1] neg_hi:[0,0,1]
	v_pk_add_f16 v7, v9, v10 op_sel:[0,1] op_sel_hi:[1,0]
	v_pk_add_f16 v8, v9, v10 op_sel:[0,1] op_sel_hi:[1,0] neg_lo:[0,1] neg_hi:[0,1]
	v_pk_add_f16 v9, v11, v10 op_sel:[0,1] op_sel_hi:[1,0] neg_lo:[0,1] neg_hi:[0,1]
	;; [unrolled: 1-line block ×3, first 2 shown]
	v_bfi_b32 v7, s4, v7, v8
	v_bfi_b32 v6, s4, v9, v6
	ds_write_b32 v14, v7 offset:3168
	ds_write_b32 v1, v6 offset:4752
	s_waitcnt lgkmcnt(0)
	s_barrier
	s_and_saveexec_b64 s[4:5], s[0:1]
	s_cbranch_execz .LBB0_28
; %bb.26:
	v_mov_b32_e32 v1, s3
	v_add_co_u32_e32 v2, vcc, s2, v2
	v_addc_co_u32_e32 v1, vcc, v1, v3, vcc
	ds_read2_b32 v[6:7], v14 offset1:198
	v_add_co_u32_e32 v3, vcc, v2, v4
	v_addc_co_u32_e32 v4, vcc, v1, v5, vcc
	v_add_u32_e32 v5, 0x600, v14
	ds_read2_b32 v[8:9], v5 offset0:12 offset1:210
	v_add_u32_e32 v5, 0xc00, v14
	ds_read2_b32 v[10:11], v5 offset0:24 offset1:222
	s_waitcnt lgkmcnt(2)
	global_store_dword v[3:4], v6, off
	global_store_dword v[3:4], v7, off offset:792
	s_waitcnt lgkmcnt(1)
	global_store_dword v[3:4], v8, off offset:1584
	global_store_dword v[3:4], v9, off offset:2376
	s_waitcnt lgkmcnt(0)
	global_store_dword v[3:4], v10, off offset:3168
	global_store_dword v[3:4], v11, off offset:3960
	v_add_u32_e32 v5, 0x1200, v14
	ds_read2_b32 v[5:6], v5 offset0:36 offset1:234
	v_add_u32_e32 v7, 0x1800, v14
	v_add_co_u32_e32 v3, vcc, 0x1000, v3
	ds_read2_b32 v[7:8], v7 offset0:48 offset1:246
	v_addc_co_u32_e32 v4, vcc, 0, v4, vcc
	s_movk_i32 s0, 0xc5
	v_cmp_eq_u32_e32 vcc, s0, v0
	s_waitcnt lgkmcnt(1)
	global_store_dword v[3:4], v5, off offset:656
	global_store_dword v[3:4], v6, off offset:1448
	s_waitcnt lgkmcnt(0)
	global_store_dword v[3:4], v7, off offset:2240
	global_store_dword v[3:4], v8, off offset:3032
	s_and_b64 exec, exec, vcc
	s_cbranch_execz .LBB0_28
; %bb.27:
	v_mov_b32_e32 v0, 0
	ds_read_b32 v3, v0 offset:7920
	v_add_co_u32_e32 v0, vcc, 0x1000, v2
	v_addc_co_u32_e32 v1, vcc, 0, v1, vcc
	s_waitcnt lgkmcnt(0)
	global_store_dword v[0:1], v3, off offset:3824
.LBB0_28:
	s_endpgm
	.section	.rodata,"a",@progbits
	.p2align	6, 0x0
	.amdhsa_kernel fft_rtc_back_len1980_factors_11_2_3_3_5_2_wgs_198_tpt_198_halfLds_half_ip_CI_unitstride_sbrr_R2C_dirReg
		.amdhsa_group_segment_fixed_size 0
		.amdhsa_private_segment_fixed_size 0
		.amdhsa_kernarg_size 88
		.amdhsa_user_sgpr_count 6
		.amdhsa_user_sgpr_private_segment_buffer 1
		.amdhsa_user_sgpr_dispatch_ptr 0
		.amdhsa_user_sgpr_queue_ptr 0
		.amdhsa_user_sgpr_kernarg_segment_ptr 1
		.amdhsa_user_sgpr_dispatch_id 0
		.amdhsa_user_sgpr_flat_scratch_init 0
		.amdhsa_user_sgpr_private_segment_size 0
		.amdhsa_uses_dynamic_stack 0
		.amdhsa_system_sgpr_private_segment_wavefront_offset 0
		.amdhsa_system_sgpr_workgroup_id_x 1
		.amdhsa_system_sgpr_workgroup_id_y 0
		.amdhsa_system_sgpr_workgroup_id_z 0
		.amdhsa_system_sgpr_workgroup_info 0
		.amdhsa_system_vgpr_workitem_id 0
		.amdhsa_next_free_vgpr 71
		.amdhsa_next_free_sgpr 22
		.amdhsa_reserve_vcc 1
		.amdhsa_reserve_flat_scratch 0
		.amdhsa_float_round_mode_32 0
		.amdhsa_float_round_mode_16_64 0
		.amdhsa_float_denorm_mode_32 3
		.amdhsa_float_denorm_mode_16_64 3
		.amdhsa_dx10_clamp 1
		.amdhsa_ieee_mode 1
		.amdhsa_fp16_overflow 0
		.amdhsa_exception_fp_ieee_invalid_op 0
		.amdhsa_exception_fp_denorm_src 0
		.amdhsa_exception_fp_ieee_div_zero 0
		.amdhsa_exception_fp_ieee_overflow 0
		.amdhsa_exception_fp_ieee_underflow 0
		.amdhsa_exception_fp_ieee_inexact 0
		.amdhsa_exception_int_div_zero 0
	.end_amdhsa_kernel
	.text
.Lfunc_end0:
	.size	fft_rtc_back_len1980_factors_11_2_3_3_5_2_wgs_198_tpt_198_halfLds_half_ip_CI_unitstride_sbrr_R2C_dirReg, .Lfunc_end0-fft_rtc_back_len1980_factors_11_2_3_3_5_2_wgs_198_tpt_198_halfLds_half_ip_CI_unitstride_sbrr_R2C_dirReg
                                        ; -- End function
	.section	.AMDGPU.csdata,"",@progbits
; Kernel info:
; codeLenInByte = 9500
; NumSgprs: 26
; NumVgprs: 71
; ScratchSize: 0
; MemoryBound: 0
; FloatMode: 240
; IeeeMode: 1
; LDSByteSize: 0 bytes/workgroup (compile time only)
; SGPRBlocks: 3
; VGPRBlocks: 17
; NumSGPRsForWavesPerEU: 26
; NumVGPRsForWavesPerEU: 71
; Occupancy: 3
; WaveLimiterHint : 1
; COMPUTE_PGM_RSRC2:SCRATCH_EN: 0
; COMPUTE_PGM_RSRC2:USER_SGPR: 6
; COMPUTE_PGM_RSRC2:TRAP_HANDLER: 0
; COMPUTE_PGM_RSRC2:TGID_X_EN: 1
; COMPUTE_PGM_RSRC2:TGID_Y_EN: 0
; COMPUTE_PGM_RSRC2:TGID_Z_EN: 0
; COMPUTE_PGM_RSRC2:TIDIG_COMP_CNT: 0
	.type	__hip_cuid_4d6eebfb9f5f695b,@object ; @__hip_cuid_4d6eebfb9f5f695b
	.section	.bss,"aw",@nobits
	.globl	__hip_cuid_4d6eebfb9f5f695b
__hip_cuid_4d6eebfb9f5f695b:
	.byte	0                               ; 0x0
	.size	__hip_cuid_4d6eebfb9f5f695b, 1

	.ident	"AMD clang version 19.0.0git (https://github.com/RadeonOpenCompute/llvm-project roc-6.4.0 25133 c7fe45cf4b819c5991fe208aaa96edf142730f1d)"
	.section	".note.GNU-stack","",@progbits
	.addrsig
	.addrsig_sym __hip_cuid_4d6eebfb9f5f695b
	.amdgpu_metadata
---
amdhsa.kernels:
  - .args:
      - .actual_access:  read_only
        .address_space:  global
        .offset:         0
        .size:           8
        .value_kind:     global_buffer
      - .offset:         8
        .size:           8
        .value_kind:     by_value
      - .actual_access:  read_only
        .address_space:  global
        .offset:         16
        .size:           8
        .value_kind:     global_buffer
      - .actual_access:  read_only
        .address_space:  global
        .offset:         24
        .size:           8
        .value_kind:     global_buffer
      - .offset:         32
        .size:           8
        .value_kind:     by_value
      - .actual_access:  read_only
        .address_space:  global
        .offset:         40
        .size:           8
        .value_kind:     global_buffer
      - .actual_access:  read_only
        .address_space:  global
        .offset:         48
        .size:           8
        .value_kind:     global_buffer
      - .offset:         56
        .size:           4
        .value_kind:     by_value
      - .actual_access:  read_only
        .address_space:  global
        .offset:         64
        .size:           8
        .value_kind:     global_buffer
      - .actual_access:  read_only
        .address_space:  global
        .offset:         72
        .size:           8
        .value_kind:     global_buffer
      - .address_space:  global
        .offset:         80
        .size:           8
        .value_kind:     global_buffer
    .group_segment_fixed_size: 0
    .kernarg_segment_align: 8
    .kernarg_segment_size: 88
    .language:       OpenCL C
    .language_version:
      - 2
      - 0
    .max_flat_workgroup_size: 198
    .name:           fft_rtc_back_len1980_factors_11_2_3_3_5_2_wgs_198_tpt_198_halfLds_half_ip_CI_unitstride_sbrr_R2C_dirReg
    .private_segment_fixed_size: 0
    .sgpr_count:     26
    .sgpr_spill_count: 0
    .symbol:         fft_rtc_back_len1980_factors_11_2_3_3_5_2_wgs_198_tpt_198_halfLds_half_ip_CI_unitstride_sbrr_R2C_dirReg.kd
    .uniform_work_group_size: 1
    .uses_dynamic_stack: false
    .vgpr_count:     71
    .vgpr_spill_count: 0
    .wavefront_size: 64
amdhsa.target:   amdgcn-amd-amdhsa--gfx906
amdhsa.version:
  - 1
  - 2
...

	.end_amdgpu_metadata
